;; amdgpu-corpus repo=ROCm/rocFFT kind=compiled arch=gfx1030 opt=O3
	.text
	.amdgcn_target "amdgcn-amd-amdhsa--gfx1030"
	.amdhsa_code_object_version 6
	.protected	fft_rtc_back_len1540_factors_11_2_7_5_2_wgs_154_tpt_154_halfLds_dp_ip_CI_unitstride_sbrr_C2R_dirReg ; -- Begin function fft_rtc_back_len1540_factors_11_2_7_5_2_wgs_154_tpt_154_halfLds_dp_ip_CI_unitstride_sbrr_C2R_dirReg
	.globl	fft_rtc_back_len1540_factors_11_2_7_5_2_wgs_154_tpt_154_halfLds_dp_ip_CI_unitstride_sbrr_C2R_dirReg
	.p2align	8
	.type	fft_rtc_back_len1540_factors_11_2_7_5_2_wgs_154_tpt_154_halfLds_dp_ip_CI_unitstride_sbrr_C2R_dirReg,@function
fft_rtc_back_len1540_factors_11_2_7_5_2_wgs_154_tpt_154_halfLds_dp_ip_CI_unitstride_sbrr_C2R_dirReg: ; @fft_rtc_back_len1540_factors_11_2_7_5_2_wgs_154_tpt_154_halfLds_dp_ip_CI_unitstride_sbrr_C2R_dirReg
; %bb.0:
	s_clause 0x2
	s_load_dwordx4 s[8:11], s[4:5], 0x0
	s_load_dwordx2 s[2:3], s[4:5], 0x50
	s_load_dwordx2 s[12:13], s[4:5], 0x18
	v_mul_u32_u24_e32 v1, 0x1aa, v0
	v_mov_b32_e32 v3, 0
	v_add_nc_u32_sdwa v5, s6, v1 dst_sel:DWORD dst_unused:UNUSED_PAD src0_sel:DWORD src1_sel:WORD_1
	v_mov_b32_e32 v1, 0
	v_mov_b32_e32 v6, v3
	v_mov_b32_e32 v2, 0
	s_waitcnt lgkmcnt(0)
	v_cmp_lt_u64_e64 s0, s[10:11], 2
	s_and_b32 vcc_lo, exec_lo, s0
	s_cbranch_vccnz .LBB0_8
; %bb.1:
	s_load_dwordx2 s[0:1], s[4:5], 0x10
	v_mov_b32_e32 v1, 0
	s_add_u32 s6, s12, 8
	v_mov_b32_e32 v2, 0
	s_addc_u32 s7, s13, 0
	s_mov_b64 s[16:17], 1
	s_waitcnt lgkmcnt(0)
	s_add_u32 s14, s0, 8
	s_addc_u32 s15, s1, 0
.LBB0_2:                                ; =>This Inner Loop Header: Depth=1
	s_load_dwordx2 s[18:19], s[14:15], 0x0
                                        ; implicit-def: $vgpr7_vgpr8
	s_mov_b32 s0, exec_lo
	s_waitcnt lgkmcnt(0)
	v_or_b32_e32 v4, s19, v6
	v_cmpx_ne_u64_e32 0, v[3:4]
	s_xor_b32 s1, exec_lo, s0
	s_cbranch_execz .LBB0_4
; %bb.3:                                ;   in Loop: Header=BB0_2 Depth=1
	v_cvt_f32_u32_e32 v4, s18
	v_cvt_f32_u32_e32 v7, s19
	s_sub_u32 s0, 0, s18
	s_subb_u32 s20, 0, s19
	v_fmac_f32_e32 v4, 0x4f800000, v7
	v_rcp_f32_e32 v4, v4
	v_mul_f32_e32 v4, 0x5f7ffffc, v4
	v_mul_f32_e32 v7, 0x2f800000, v4
	v_trunc_f32_e32 v7, v7
	v_fmac_f32_e32 v4, 0xcf800000, v7
	v_cvt_u32_f32_e32 v7, v7
	v_cvt_u32_f32_e32 v4, v4
	v_mul_lo_u32 v8, s0, v7
	v_mul_hi_u32 v9, s0, v4
	v_mul_lo_u32 v10, s20, v4
	v_add_nc_u32_e32 v8, v9, v8
	v_mul_lo_u32 v9, s0, v4
	v_add_nc_u32_e32 v8, v8, v10
	v_mul_hi_u32 v10, v4, v9
	v_mul_lo_u32 v11, v4, v8
	v_mul_hi_u32 v12, v4, v8
	v_mul_hi_u32 v13, v7, v9
	v_mul_lo_u32 v9, v7, v9
	v_mul_hi_u32 v14, v7, v8
	v_mul_lo_u32 v8, v7, v8
	v_add_co_u32 v10, vcc_lo, v10, v11
	v_add_co_ci_u32_e32 v11, vcc_lo, 0, v12, vcc_lo
	v_add_co_u32 v9, vcc_lo, v10, v9
	v_add_co_ci_u32_e32 v9, vcc_lo, v11, v13, vcc_lo
	v_add_co_ci_u32_e32 v10, vcc_lo, 0, v14, vcc_lo
	v_add_co_u32 v8, vcc_lo, v9, v8
	v_add_co_ci_u32_e32 v9, vcc_lo, 0, v10, vcc_lo
	v_add_co_u32 v4, vcc_lo, v4, v8
	v_add_co_ci_u32_e32 v7, vcc_lo, v7, v9, vcc_lo
	v_mul_hi_u32 v8, s0, v4
	v_mul_lo_u32 v10, s20, v4
	v_mul_lo_u32 v9, s0, v7
	v_add_nc_u32_e32 v8, v8, v9
	v_mul_lo_u32 v9, s0, v4
	v_add_nc_u32_e32 v8, v8, v10
	v_mul_hi_u32 v10, v4, v9
	v_mul_lo_u32 v11, v4, v8
	v_mul_hi_u32 v12, v4, v8
	v_mul_hi_u32 v13, v7, v9
	v_mul_lo_u32 v9, v7, v9
	v_mul_hi_u32 v14, v7, v8
	v_mul_lo_u32 v8, v7, v8
	v_add_co_u32 v10, vcc_lo, v10, v11
	v_add_co_ci_u32_e32 v11, vcc_lo, 0, v12, vcc_lo
	v_add_co_u32 v9, vcc_lo, v10, v9
	v_add_co_ci_u32_e32 v9, vcc_lo, v11, v13, vcc_lo
	v_add_co_ci_u32_e32 v10, vcc_lo, 0, v14, vcc_lo
	v_add_co_u32 v8, vcc_lo, v9, v8
	v_add_co_ci_u32_e32 v9, vcc_lo, 0, v10, vcc_lo
	v_add_co_u32 v4, vcc_lo, v4, v8
	v_add_co_ci_u32_e32 v11, vcc_lo, v7, v9, vcc_lo
	v_mul_hi_u32 v13, v5, v4
	v_mad_u64_u32 v[9:10], null, v6, v4, 0
	v_mad_u64_u32 v[7:8], null, v5, v11, 0
	;; [unrolled: 1-line block ×3, first 2 shown]
	v_add_co_u32 v4, vcc_lo, v13, v7
	v_add_co_ci_u32_e32 v7, vcc_lo, 0, v8, vcc_lo
	v_add_co_u32 v4, vcc_lo, v4, v9
	v_add_co_ci_u32_e32 v4, vcc_lo, v7, v10, vcc_lo
	v_add_co_ci_u32_e32 v7, vcc_lo, 0, v12, vcc_lo
	v_add_co_u32 v4, vcc_lo, v4, v11
	v_add_co_ci_u32_e32 v9, vcc_lo, 0, v7, vcc_lo
	v_mul_lo_u32 v10, s19, v4
	v_mad_u64_u32 v[7:8], null, s18, v4, 0
	v_mul_lo_u32 v11, s18, v9
	v_sub_co_u32 v7, vcc_lo, v5, v7
	v_add3_u32 v8, v8, v11, v10
	v_sub_nc_u32_e32 v10, v6, v8
	v_subrev_co_ci_u32_e64 v10, s0, s19, v10, vcc_lo
	v_add_co_u32 v11, s0, v4, 2
	v_add_co_ci_u32_e64 v12, s0, 0, v9, s0
	v_sub_co_u32 v13, s0, v7, s18
	v_sub_co_ci_u32_e32 v8, vcc_lo, v6, v8, vcc_lo
	v_subrev_co_ci_u32_e64 v10, s0, 0, v10, s0
	v_cmp_le_u32_e32 vcc_lo, s18, v13
	v_cmp_eq_u32_e64 s0, s19, v8
	v_cndmask_b32_e64 v13, 0, -1, vcc_lo
	v_cmp_le_u32_e32 vcc_lo, s19, v10
	v_cndmask_b32_e64 v14, 0, -1, vcc_lo
	v_cmp_le_u32_e32 vcc_lo, s18, v7
	;; [unrolled: 2-line block ×3, first 2 shown]
	v_cndmask_b32_e64 v15, 0, -1, vcc_lo
	v_cmp_eq_u32_e32 vcc_lo, s19, v10
	v_cndmask_b32_e64 v7, v15, v7, s0
	v_cndmask_b32_e32 v10, v14, v13, vcc_lo
	v_add_co_u32 v13, vcc_lo, v4, 1
	v_add_co_ci_u32_e32 v14, vcc_lo, 0, v9, vcc_lo
	v_cmp_ne_u32_e32 vcc_lo, 0, v10
	v_cndmask_b32_e32 v8, v14, v12, vcc_lo
	v_cndmask_b32_e32 v10, v13, v11, vcc_lo
	v_cmp_ne_u32_e32 vcc_lo, 0, v7
	v_cndmask_b32_e32 v8, v9, v8, vcc_lo
	v_cndmask_b32_e32 v7, v4, v10, vcc_lo
.LBB0_4:                                ;   in Loop: Header=BB0_2 Depth=1
	s_andn2_saveexec_b32 s0, s1
	s_cbranch_execz .LBB0_6
; %bb.5:                                ;   in Loop: Header=BB0_2 Depth=1
	v_cvt_f32_u32_e32 v4, s18
	s_sub_i32 s1, 0, s18
	v_rcp_iflag_f32_e32 v4, v4
	v_mul_f32_e32 v4, 0x4f7ffffe, v4
	v_cvt_u32_f32_e32 v4, v4
	v_mul_lo_u32 v7, s1, v4
	v_mul_hi_u32 v7, v4, v7
	v_add_nc_u32_e32 v4, v4, v7
	v_mul_hi_u32 v4, v5, v4
	v_mul_lo_u32 v7, v4, s18
	v_add_nc_u32_e32 v8, 1, v4
	v_sub_nc_u32_e32 v7, v5, v7
	v_subrev_nc_u32_e32 v9, s18, v7
	v_cmp_le_u32_e32 vcc_lo, s18, v7
	v_cndmask_b32_e32 v7, v7, v9, vcc_lo
	v_cndmask_b32_e32 v4, v4, v8, vcc_lo
	v_cmp_le_u32_e32 vcc_lo, s18, v7
	v_add_nc_u32_e32 v8, 1, v4
	v_cndmask_b32_e32 v7, v4, v8, vcc_lo
	v_mov_b32_e32 v8, v3
.LBB0_6:                                ;   in Loop: Header=BB0_2 Depth=1
	s_or_b32 exec_lo, exec_lo, s0
	s_load_dwordx2 s[0:1], s[6:7], 0x0
	v_mul_lo_u32 v4, v8, s18
	v_mul_lo_u32 v11, v7, s19
	v_mad_u64_u32 v[9:10], null, v7, s18, 0
	s_add_u32 s16, s16, 1
	s_addc_u32 s17, s17, 0
	s_add_u32 s6, s6, 8
	s_addc_u32 s7, s7, 0
	;; [unrolled: 2-line block ×3, first 2 shown]
	v_add3_u32 v4, v10, v11, v4
	v_sub_co_u32 v5, vcc_lo, v5, v9
	v_sub_co_ci_u32_e32 v4, vcc_lo, v6, v4, vcc_lo
	s_waitcnt lgkmcnt(0)
	v_mul_lo_u32 v6, s1, v5
	v_mul_lo_u32 v4, s0, v4
	v_mad_u64_u32 v[1:2], null, s0, v5, v[1:2]
	v_cmp_ge_u64_e64 s0, s[16:17], s[10:11]
	s_and_b32 vcc_lo, exec_lo, s0
	v_add3_u32 v2, v6, v2, v4
	s_cbranch_vccnz .LBB0_9
; %bb.7:                                ;   in Loop: Header=BB0_2 Depth=1
	v_mov_b32_e32 v5, v7
	v_mov_b32_e32 v6, v8
	s_branch .LBB0_2
.LBB0_8:
	v_mov_b32_e32 v8, v6
	v_mov_b32_e32 v7, v5
.LBB0_9:
	s_lshl_b64 s[0:1], s[10:11], 3
	v_mul_hi_u32 v3, 0x1a98ef7, v0
	s_add_u32 s0, s12, s0
	s_addc_u32 s1, s13, s1
	s_load_dwordx2 s[0:1], s[0:1], 0x0
	s_load_dwordx2 s[4:5], s[4:5], 0x20
	v_mul_u32_u24_e32 v3, 0x9a, v3
	s_waitcnt lgkmcnt(0)
	v_mul_lo_u32 v4, s0, v8
	v_mul_lo_u32 v5, s1, v7
	v_mad_u64_u32 v[1:2], null, s0, v7, v[1:2]
	v_cmp_gt_u64_e32 vcc_lo, s[4:5], v[7:8]
	v_add3_u32 v2, v5, v2, v4
	v_sub_nc_u32_e32 v4, v0, v3
	v_mov_b32_e32 v5, 0
	v_lshlrev_b64 v[56:57], 4, v[1:2]
	v_mov_b32_e32 v58, v4
	s_and_saveexec_b32 s1, vcc_lo
	s_cbranch_execz .LBB0_13
; %bb.10:
	v_lshlrev_b64 v[0:1], 4, v[4:5]
	v_add_co_u32 v2, s0, s2, v56
	v_add_co_ci_u32_e64 v3, s0, s3, v57, s0
	v_lshl_add_u32 v46, v4, 4, 0
	v_add_co_u32 v0, s0, v2, v0
	v_add_co_ci_u32_e64 v1, s0, v3, v1, s0
	s_mov_b32 s4, exec_lo
	v_add_co_u32 v10, s0, 0x800, v0
	v_add_co_ci_u32_e64 v11, s0, 0, v1, s0
	v_add_co_u32 v14, s0, 0x1000, v0
	v_add_co_ci_u32_e64 v15, s0, 0, v1, s0
	v_add_co_u32 v18, s0, 0x1800, v0
	v_add_co_ci_u32_e64 v19, s0, 0, v1, s0
	v_add_co_u32 v22, s0, 0x2000, v0
	v_add_co_ci_u32_e64 v23, s0, 0, v1, s0
	v_add_co_u32 v26, s0, 0x3000, v0
	v_add_co_ci_u32_e64 v27, s0, 0, v1, s0
	v_add_co_u32 v30, s0, 0x3800, v0
	v_add_co_ci_u32_e64 v31, s0, 0, v1, s0
	v_add_co_u32 v34, s0, 0x4000, v0
	v_add_co_ci_u32_e64 v35, s0, 0, v1, s0
	v_add_co_u32 v38, s0, 0x4800, v0
	v_add_co_ci_u32_e64 v39, s0, 0, v1, s0
	s_clause 0x3
	global_load_dwordx4 v[6:9], v[0:1], off
	global_load_dwordx4 v[10:13], v[10:11], off offset:416
	global_load_dwordx4 v[14:17], v[14:15], off offset:832
	;; [unrolled: 1-line block ×3, first 2 shown]
	v_add_co_u32 v0, s0, 0x5000, v0
	v_add_co_ci_u32_e64 v1, s0, 0, v1, s0
	s_clause 0x5
	global_load_dwordx4 v[22:25], v[22:23], off offset:1664
	global_load_dwordx4 v[26:29], v[26:27], off offset:32
	;; [unrolled: 1-line block ×6, first 2 shown]
	v_mov_b32_e32 v0, v4
	v_mov_b32_e32 v1, v5
	s_waitcnt vmcnt(9)
	ds_write_b128 v46, v[6:9]
	s_waitcnt vmcnt(8)
	ds_write_b128 v46, v[10:13] offset:2464
	s_waitcnt vmcnt(7)
	ds_write_b128 v46, v[14:17] offset:4928
	;; [unrolled: 2-line block ×9, first 2 shown]
	v_cmpx_eq_u32_e32 0x99, v4
	s_cbranch_execz .LBB0_12
; %bb.11:
	v_add_co_u32 v0, s0, 0x6000, v2
	v_add_co_ci_u32_e64 v1, s0, 0, v3, s0
	v_mov_b32_e32 v2, 0
	v_mov_b32_e32 v4, 0x99
	global_load_dwordx4 v[5:8], v[0:1], off offset:64
	v_mov_b32_e32 v0, 0x99
	v_mov_b32_e32 v1, 0
	s_waitcnt vmcnt(0)
	ds_write_b128 v2, v[5:8] offset:24640
.LBB0_12:
	s_or_b32 exec_lo, exec_lo, s4
	v_mov_b32_e32 v58, v4
	v_mov_b32_e32 v5, v1
	;; [unrolled: 1-line block ×3, first 2 shown]
.LBB0_13:
	s_or_b32 exec_lo, exec_lo, s1
	v_lshlrev_b32_e32 v0, 4, v58
	s_waitcnt lgkmcnt(0)
	s_barrier
	buffer_gl0_inv
	v_lshlrev_b64 v[59:60], 4, v[4:5]
	v_add_nc_u32_e32 v126, 0, v0
	v_sub_nc_u32_e32 v10, 0, v0
	s_add_u32 s1, s8, 0x5f90
	s_addc_u32 s4, s9, 0
	s_mov_b32 s5, exec_lo
	ds_read_b64 v[6:7], v126
	ds_read_b64 v[8:9], v10 offset:24640
	s_waitcnt lgkmcnt(0)
	v_add_f64 v[0:1], v[6:7], v[8:9]
	v_add_f64 v[2:3], v[6:7], -v[8:9]
	v_cmpx_ne_u32_e32 0, v58
	s_xor_b32 s5, exec_lo, s5
	s_cbranch_execz .LBB0_15
; %bb.14:
	v_add_co_u32 v0, s0, s1, v59
	v_add_co_ci_u32_e64 v1, s0, s4, v60, s0
	v_add_f64 v[13:14], v[6:7], v[8:9]
	v_add_f64 v[8:9], v[6:7], -v[8:9]
	global_load_dwordx4 v[2:5], v[0:1], off
	ds_read_b64 v[0:1], v10 offset:24648
	ds_read_b64 v[11:12], v126 offset:8
	s_waitcnt lgkmcnt(0)
	v_add_f64 v[6:7], v[0:1], v[11:12]
	v_add_f64 v[0:1], v[11:12], -v[0:1]
	s_waitcnt vmcnt(0)
	v_fma_f64 v[11:12], v[8:9], v[4:5], v[13:14]
	v_fma_f64 v[13:14], -v[8:9], v[4:5], v[13:14]
	v_fma_f64 v[15:16], v[6:7], v[4:5], -v[0:1]
	v_fma_f64 v[17:18], v[6:7], v[4:5], v[0:1]
	v_fma_f64 v[0:1], -v[6:7], v[2:3], v[11:12]
	v_fma_f64 v[4:5], v[6:7], v[2:3], v[13:14]
	v_fma_f64 v[6:7], v[8:9], v[2:3], v[15:16]
	;; [unrolled: 1-line block ×3, first 2 shown]
	ds_write_b128 v10, v[4:7] offset:24640
.LBB0_15:
	s_andn2_saveexec_b32 s0, s5
	s_cbranch_execz .LBB0_17
; %bb.16:
	v_mov_b32_e32 v8, 0
	ds_read_b128 v[4:7], v8 offset:12320
	s_waitcnt lgkmcnt(0)
	v_add_f64 v[4:5], v[4:5], v[4:5]
	v_mul_f64 v[6:7], v[6:7], -2.0
	ds_write_b128 v8, v[4:7] offset:12320
.LBB0_17:
	s_or_b32 exec_lo, exec_lo, s0
	v_add_nc_u32_e32 v69, 0x9a, v58
	v_mov_b32_e32 v70, 0
	v_add_nc_u32_e32 v48, 0x134, v58
	ds_write_b128 v126, v[0:3]
	s_mov_b32 s6, 0xf8bb580b
	s_mov_b32 s7, 0xbfe14ced
	v_lshlrev_b64 v[61:62], 4, v[69:70]
	v_mov_b32_e32 v49, v70
	v_mov_b32_e32 v50, v70
	;; [unrolled: 1-line block ×3, first 2 shown]
	s_mov_b32 s18, 0x8eee2c13
	s_mov_b32 s10, 0xd9c712b6
	v_add_co_u32 v4, s0, s1, v61
	v_add_co_ci_u32_e64 v5, s0, s4, v62, s0
	v_lshlrev_b64 v[63:64], 4, v[48:49]
	v_add_nc_u32_e32 v49, 0x1ce, v58
	s_mov_b32 s19, 0xbfed1bb4
	global_load_dwordx4 v[4:7], v[4:5], off
	s_mov_b32 s11, 0x3fda9628
	s_mov_b32 s12, 0x640f44db
	v_add_co_u32 v8, s0, s1, v63
	v_add_co_ci_u32_e64 v9, s0, s4, v64, s0
	v_lshlrev_b64 v[65:66], 4, v[49:50]
	v_add_nc_u32_e32 v50, 0x268, v58
	s_mov_b32 s22, 0x43842ef
	global_load_dwordx4 v[11:14], v[8:9], off
	s_mov_b32 s13, 0xbfc2375f
	s_mov_b32 s23, 0xbfefac9e
	v_add_co_u32 v8, s0, s1, v65
	v_add_co_ci_u32_e64 v9, s0, s4, v66, s0
	v_lshlrev_b64 v[67:68], 4, v[50:51]
	s_mov_b32 s14, 0x7f775887
	s_mov_b32 s16, 0xbb3a28a1
	global_load_dwordx4 v[15:18], v[8:9], off
	ds_read_b128 v[0:3], v126 offset:2464
	ds_read_b128 v[19:22], v10 offset:22176
	s_mov_b32 s15, 0xbfe4f49e
	v_add_co_u32 v8, s0, s1, v67
	v_add_co_ci_u32_e64 v9, s0, s4, v68, s0
	s_mov_b32 s4, 0x8764f0ba
	s_mov_b32 s5, 0x3feaeb8c
	;; [unrolled: 1-line block ×3, first 2 shown]
	global_load_dwordx4 v[23:26], v[8:9], off
	s_mov_b32 s20, 0x9bcd5057
	s_mov_b32 s21, 0xbfeeb42a
	;; [unrolled: 1-line block ×4, first 2 shown]
	s_mov_b32 s30, exec_lo
	s_waitcnt lgkmcnt(0)
	v_add_f64 v[8:9], v[0:1], v[19:20]
	v_add_f64 v[27:28], v[21:22], v[2:3]
	v_add_f64 v[19:20], v[0:1], -v[19:20]
	v_add_f64 v[0:1], v[2:3], -v[21:22]
	s_waitcnt vmcnt(3)
	v_fma_f64 v[2:3], v[19:20], v[6:7], v[8:9]
	v_fma_f64 v[21:22], v[27:28], v[6:7], v[0:1]
	v_fma_f64 v[8:9], -v[19:20], v[6:7], v[8:9]
	v_fma_f64 v[29:30], v[27:28], v[6:7], -v[0:1]
	v_fma_f64 v[0:1], -v[27:28], v[4:5], v[2:3]
	v_fma_f64 v[2:3], v[19:20], v[4:5], v[21:22]
	v_fma_f64 v[6:7], v[27:28], v[4:5], v[8:9]
	v_fma_f64 v[8:9], v[19:20], v[4:5], v[29:30]
	ds_write_b128 v126, v[0:3] offset:2464
	ds_write_b128 v10, v[6:9] offset:22176
	ds_read_b128 v[0:3], v126 offset:4928
	ds_read_b128 v[4:7], v10 offset:19712
	s_waitcnt lgkmcnt(0)
	v_add_f64 v[8:9], v[0:1], v[4:5]
	v_add_f64 v[19:20], v[6:7], v[2:3]
	v_add_f64 v[21:22], v[0:1], -v[4:5]
	v_add_f64 v[0:1], v[2:3], -v[6:7]
	s_waitcnt vmcnt(2)
	v_fma_f64 v[2:3], v[21:22], v[13:14], v[8:9]
	v_fma_f64 v[4:5], v[19:20], v[13:14], v[0:1]
	v_fma_f64 v[6:7], -v[21:22], v[13:14], v[8:9]
	v_fma_f64 v[8:9], v[19:20], v[13:14], -v[0:1]
	v_fma_f64 v[0:1], -v[19:20], v[11:12], v[2:3]
	v_fma_f64 v[2:3], v[21:22], v[11:12], v[4:5]
	v_fma_f64 v[4:5], v[19:20], v[11:12], v[6:7]
	v_fma_f64 v[6:7], v[21:22], v[11:12], v[8:9]
	ds_write_b128 v126, v[0:3] offset:4928
	ds_write_b128 v10, v[4:7] offset:19712
	ds_read_b128 v[0:3], v126 offset:7392
	ds_read_b128 v[4:7], v10 offset:17248
	;; [unrolled: 18-line block ×3, first 2 shown]
	s_waitcnt lgkmcnt(0)
	v_add_f64 v[8:9], v[0:1], v[4:5]
	v_add_f64 v[11:12], v[6:7], v[2:3]
	v_add_f64 v[13:14], v[0:1], -v[4:5]
	v_add_f64 v[0:1], v[2:3], -v[6:7]
	s_waitcnt vmcnt(0)
	v_fma_f64 v[2:3], v[13:14], v[25:26], v[8:9]
	v_fma_f64 v[4:5], v[11:12], v[25:26], v[0:1]
	v_fma_f64 v[6:7], -v[13:14], v[25:26], v[8:9]
	v_fma_f64 v[8:9], v[11:12], v[25:26], -v[0:1]
	v_fma_f64 v[0:1], -v[11:12], v[23:24], v[2:3]
	v_fma_f64 v[2:3], v[13:14], v[23:24], v[4:5]
	v_fma_f64 v[4:5], v[11:12], v[23:24], v[6:7]
	;; [unrolled: 1-line block ×3, first 2 shown]
	ds_write_b128 v126, v[0:3] offset:9856
	ds_write_b128 v10, v[4:7] offset:14784
	s_waitcnt lgkmcnt(0)
	s_barrier
	buffer_gl0_inv
	s_barrier
	buffer_gl0_inv
	ds_read_b128 v[4:7], v126 offset:22400
	ds_read_b128 v[44:47], v126 offset:2240
	;; [unrolled: 1-line block ×3, first 2 shown]
	ds_read_b128 v[16:19], v126
	ds_read_b128 v[40:43], v126 offset:4480
	ds_read_b128 v[24:27], v126 offset:6720
	;; [unrolled: 1-line block ×7, first 2 shown]
	s_waitcnt lgkmcnt(0)
	s_barrier
	buffer_gl0_inv
	v_add_f64 v[122:123], v[46:47], -v[6:7]
	v_add_f64 v[114:115], v[46:47], v[6:7]
	v_add_f64 v[120:121], v[44:45], v[4:5]
	v_add_f64 v[106:107], v[42:43], -v[10:11]
	v_add_f64 v[124:125], v[44:45], -v[4:5]
	v_add_f64 v[53:54], v[42:43], v[10:11]
	v_add_f64 v[84:85], v[40:41], v[8:9]
	v_add_f64 v[110:111], v[40:41], -v[8:9]
	;; [unrolled: 4-line block ×4, first 2 shown]
	v_add_f64 v[82:83], v[34:35], -v[30:31]
	v_add_f64 v[70:71], v[34:35], v[30:31]
	v_add_f64 v[98:99], v[32:33], -v[28:29]
	v_mul_f64 v[116:117], v[122:123], s[6:7]
	v_mul_f64 v[118:119], v[114:115], s[4:5]
	;; [unrolled: 1-line block ×9, first 2 shown]
	v_fma_f64 v[0:1], v[120:121], s[4:5], -v[116:117]
	v_fma_f64 v[2:3], v[124:125], s[6:7], v[118:119]
	v_fma_f64 v[74:75], v[84:85], s[10:11], -v[94:95]
	v_fma_f64 v[78:79], v[110:111], s[18:19], v[100:101]
	;; [unrolled: 2-line block ×4, first 2 shown]
	v_add_f64 v[0:1], v[16:17], v[0:1]
	v_add_f64 v[2:3], v[18:19], v[2:3]
	;; [unrolled: 1-line block ×5, first 2 shown]
	v_mul_f64 v[78:79], v[82:83], s[24:25]
	v_add_f64 v[0:1], v[127:128], v[0:1]
	v_add_f64 v[2:3], v[129:130], v[2:3]
	v_fma_f64 v[129:130], v[98:99], s[24:25], v[80:81]
	v_fma_f64 v[127:128], v[74:75], s[20:21], -v[78:79]
	v_add_f64 v[0:1], v[131:132], v[0:1]
	v_add_f64 v[2:3], v[133:134], v[2:3]
	v_add_f64 v[0:1], v[127:128], v[0:1]
	v_add_f64 v[2:3], v[129:130], v[2:3]
	v_cmpx_gt_u32_e32 0x8c, v58
	s_cbranch_execz .LBB0_19
; %bb.18:
	v_add_f64 v[46:47], v[18:19], v[46:47]
	v_add_f64 v[44:45], v[16:17], v[44:45]
	v_mul_f64 v[127:128], v[124:125], s[24:25]
	v_mul_f64 v[129:130], v[122:123], s[24:25]
	s_mov_b32 s1, 0x3fe14ced
	s_mov_b32 s0, s6
	v_mul_f64 v[131:132], v[124:125], s[16:17]
	v_mul_f64 v[133:134], v[122:123], s[16:17]
	;; [unrolled: 1-line block ×8, first 2 shown]
	s_mov_b32 s27, 0x3fefac9e
	s_mov_b32 s26, s22
	v_mul_f64 v[143:144], v[112:113], s[16:17]
	v_mul_f64 v[145:146], v[86:87], s[16:17]
	;; [unrolled: 1-line block ×5, first 2 shown]
	s_mov_b32 s29, 0x3fed1bb4
	v_add_f64 v[42:43], v[46:47], v[42:43]
	v_add_f64 v[40:41], v[44:45], v[40:41]
	v_mul_f64 v[44:45], v[110:111], s[0:1]
	v_fma_f64 v[46:47], v[114:115], s[20:21], v[127:128]
	v_fma_f64 v[153:154], v[120:121], s[20:21], -v[129:130]
	v_fma_f64 v[127:128], v[114:115], s[20:21], -v[127:128]
	v_fma_f64 v[129:130], v[120:121], s[20:21], v[129:130]
	v_fma_f64 v[161:162], v[114:115], s[14:15], v[131:132]
	v_fma_f64 v[163:164], v[120:121], s[14:15], -v[133:134]
	v_fma_f64 v[131:132], v[114:115], s[14:15], -v[131:132]
	v_fma_f64 v[133:134], v[120:121], s[14:15], v[133:134]
	v_fma_f64 v[165:166], v[114:115], s[12:13], v[135:136]
	v_fma_f64 v[169:170], v[84:85], s[4:5], -v[151:152]
	v_fma_f64 v[151:152], v[84:85], s[4:5], v[151:152]
	s_mov_b32 s28, s18
	v_mul_f64 v[155:156], v[98:99], s[24:25]
	v_fma_f64 v[167:168], v[120:121], s[12:13], -v[137:138]
	v_add_f64 v[118:119], v[118:119], -v[124:125]
	v_mul_f64 v[124:125], v[96:97], s[24:25]
	v_mul_f64 v[147:148], v[112:113], s[6:7]
	v_mul_f64 v[149:150], v[86:87], s[6:7]
	v_add_f64 v[116:117], v[141:142], v[116:117]
	v_add_f64 v[26:27], v[42:43], v[26:27]
	;; [unrolled: 1-line block ×3, first 2 shown]
	v_fma_f64 v[40:41], v[114:115], s[12:13], -v[135:136]
	v_fma_f64 v[135:136], v[53:54], s[4:5], v[44:45]
	v_add_f64 v[46:47], v[18:19], v[46:47]
	v_add_f64 v[153:154], v[16:17], v[153:154]
	v_fma_f64 v[44:45], v[53:54], s[4:5], -v[44:45]
	v_add_f64 v[127:128], v[18:19], v[127:128]
	v_add_f64 v[129:130], v[16:17], v[129:130]
	v_fma_f64 v[42:43], v[120:121], s[12:13], v[137:138]
	v_fma_f64 v[137:138], v[114:115], s[10:11], v[139:140]
	v_fma_f64 v[114:115], v[114:115], s[10:11], -v[139:140]
	v_fma_f64 v[139:140], v[120:121], s[10:11], -v[122:123]
	v_fma_f64 v[120:121], v[120:121], s[10:11], v[122:123]
	v_mul_f64 v[122:123], v[104:105], s[24:25]
	s_mov_b32 s25, 0x3fd207e7
	v_add_f64 v[163:164], v[16:17], v[163:164]
	v_add_f64 v[131:132], v[18:19], v[131:132]
	;; [unrolled: 1-line block ×4, first 2 shown]
	v_mul_f64 v[141:142], v[104:105], s[28:29]
	v_add_f64 v[167:168], v[16:17], v[167:168]
	v_add_f64 v[26:27], v[26:27], v[38:39]
	;; [unrolled: 1-line block ×3, first 2 shown]
	v_fma_f64 v[36:37], v[53:54], s[12:13], v[157:158]
	v_add_f64 v[38:39], v[18:19], v[161:162]
	v_mul_f64 v[161:162], v[96:97], s[28:29]
	v_add_f64 v[46:47], v[135:136], v[46:47]
	v_fma_f64 v[135:136], v[84:85], s[12:13], -v[159:160]
	v_fma_f64 v[157:158], v[53:54], s[12:13], -v[157:158]
	v_add_f64 v[153:154], v[169:170], v[153:154]
	v_mul_f64 v[169:170], v[110:111], s[24:25]
	v_fma_f64 v[159:160], v[84:85], s[12:13], v[159:160]
	v_add_f64 v[44:45], v[44:45], v[127:128]
	v_fma_f64 v[127:128], v[51:52], s[14:15], v[143:144]
	v_add_f64 v[129:130], v[151:152], v[129:130]
	v_fma_f64 v[151:152], v[88:89], s[14:15], -v[145:146]
	v_fma_f64 v[143:144], v[51:52], s[14:15], -v[143:144]
	v_fma_f64 v[145:146], v[88:89], s[14:15], v[145:146]
	v_add_f64 v[40:41], v[18:19], v[40:41]
	v_add_f64 v[137:138], v[18:19], v[137:138]
	;; [unrolled: 1-line block ×4, first 2 shown]
	v_fma_f64 v[118:119], v[72:73], s[10:11], v[141:142]
	v_add_f64 v[26:27], v[26:27], v[34:35]
	v_add_f64 v[24:25], v[24:25], v[32:33]
	v_fma_f64 v[32:33], v[51:52], s[4:5], v[147:148]
	v_add_f64 v[36:37], v[36:37], v[38:39]
	v_fma_f64 v[38:39], v[88:89], s[4:5], -v[149:150]
	v_fma_f64 v[141:142], v[72:73], s[10:11], -v[141:142]
	v_add_f64 v[34:35], v[135:136], v[163:164]
	v_add_f64 v[131:132], v[157:158], v[131:132]
	v_fma_f64 v[135:136], v[51:52], s[4:5], -v[147:148]
	v_fma_f64 v[147:148], v[88:89], s[4:5], v[149:150]
	v_add_f64 v[133:134], v[159:160], v[133:134]
	v_fma_f64 v[149:150], v[53:54], s[20:21], v[169:170]
	v_mul_f64 v[157:158], v[112:113], s[28:29]
	v_add_f64 v[46:47], v[127:128], v[46:47]
	v_mul_f64 v[127:128], v[106:107], s[24:25]
	v_add_f64 v[44:45], v[143:144], v[44:45]
	v_add_f64 v[129:130], v[145:146], v[129:130]
	v_fma_f64 v[143:144], v[76:77], s[10:11], v[161:162]
	v_mul_f64 v[106:107], v[106:107], s[16:17]
	v_add_f64 v[42:43], v[16:17], v[42:43]
	v_add_f64 v[139:140], v[16:17], v[139:140]
	;; [unrolled: 1-line block ×5, first 2 shown]
	v_mul_f64 v[30:31], v[110:111], s[16:17]
	v_add_f64 v[32:33], v[32:33], v[36:37]
	v_fma_f64 v[36:37], v[72:73], s[20:21], v[122:123]
	v_fma_f64 v[122:123], v[72:73], s[20:21], -v[122:123]
	v_mul_f64 v[110:111], v[110:111], s[18:19]
	v_add_f64 v[34:35], v[38:39], v[34:35]
	v_add_f64 v[131:132], v[135:136], v[131:132]
	v_fma_f64 v[38:39], v[76:77], s[20:21], -v[124:125]
	v_add_f64 v[28:29], v[147:148], v[133:134]
	v_add_f64 v[133:134], v[149:150], v[165:166]
	v_fma_f64 v[135:136], v[51:52], s[10:11], v[157:158]
	v_fma_f64 v[124:125], v[76:77], s[20:21], v[124:125]
	v_add_f64 v[16:17], v[16:17], v[116:117]
	v_fma_f64 v[116:117], v[84:85], s[20:21], -v[127:128]
	v_add_f64 v[44:45], v[141:142], v[44:45]
	v_add_f64 v[129:130], v[143:144], v[129:130]
	v_mul_f64 v[143:144], v[84:85], s[10:11]
	v_fma_f64 v[141:142], v[53:54], s[20:21], -v[169:170]
	v_fma_f64 v[145:146], v[51:52], s[10:11], -v[157:158]
	v_add_f64 v[151:152], v[151:152], v[153:154]
	v_add_f64 v[22:23], v[26:27], v[22:23]
	v_mul_f64 v[26:27], v[88:89], s[12:13]
	v_add_f64 v[20:21], v[24:25], v[20:21]
	v_fma_f64 v[24:25], v[53:54], s[14:15], -v[30:31]
	v_add_f64 v[32:33], v[36:37], v[32:33]
	v_fma_f64 v[36:37], v[84:85], s[20:21], v[127:128]
	v_add_f64 v[100:101], v[100:101], -v[110:111]
	v_fma_f64 v[30:31], v[53:54], s[14:15], v[30:31]
	v_add_f64 v[122:123], v[122:123], v[131:132]
	v_add_f64 v[38:39], v[38:39], v[34:35]
	v_mul_f64 v[34:35], v[98:99], s[22:23]
	v_mul_f64 v[110:111], v[98:99], s[28:29]
	v_add_f64 v[131:132], v[135:136], v[133:134]
	v_mul_f64 v[133:134], v[112:113], s[22:23]
	v_add_f64 v[124:125], v[124:125], v[28:29]
	v_fma_f64 v[28:29], v[84:85], s[14:15], v[106:107]
	v_mul_f64 v[112:113], v[112:113], s[24:25]
	v_fma_f64 v[84:85], v[84:85], s[14:15], -v[106:107]
	v_add_f64 v[94:95], v[143:144], v[94:95]
	v_mul_f64 v[106:107], v[86:87], s[24:25]
	v_mul_f64 v[86:87], v[86:87], s[28:29]
	;; [unrolled: 1-line block ×4, first 2 shown]
	v_add_f64 v[26:27], v[26:27], v[102:103]
	v_add_f64 v[40:41], v[141:142], v[40:41]
	;; [unrolled: 1-line block ×6, first 2 shown]
	v_mul_f64 v[100:101], v[96:97], s[6:7]
	v_mul_f64 v[96:97], v[96:97], s[26:27]
	v_add_f64 v[30:31], v[30:31], v[137:138]
	v_mul_f64 v[42:43], v[74:75], s[20:21]
	v_add_f64 v[14:15], v[22:23], v[14:15]
	v_add_f64 v[12:13], v[20:21], v[12:13]
	v_add_f64 v[108:109], v[108:109], -v[133:134]
	v_mul_f64 v[127:128], v[82:83], s[22:23]
	v_add_f64 v[28:29], v[28:29], v[120:121]
	v_mul_f64 v[120:121], v[104:105], s[6:7]
	v_fma_f64 v[133:134], v[51:52], s[20:21], -v[112:113]
	v_add_f64 v[16:17], v[94:95], v[16:17]
	v_mul_f64 v[104:105], v[104:105], s[26:27]
	v_fma_f64 v[51:52], v[51:52], s[20:21], v[112:113]
	v_fma_f64 v[112:113], v[88:89], s[20:21], v[106:107]
	;; [unrolled: 1-line block ×3, first 2 shown]
	v_fma_f64 v[86:87], v[88:89], s[10:11], -v[86:87]
	v_fma_f64 v[88:89], v[88:89], s[20:21], -v[106:107]
	v_add_f64 v[84:85], v[84:85], v[139:140]
	v_add_f64 v[92:93], v[92:93], -v[143:144]
	v_add_f64 v[90:91], v[135:136], v[90:91]
	v_mul_f64 v[141:142], v[82:83], s[28:29]
	v_mul_f64 v[106:107], v[98:99], s[16:17]
	v_add_f64 v[40:41], v[145:146], v[40:41]
	v_mul_f64 v[145:146], v[82:83], s[16:17]
	v_mul_f64 v[98:99], v[98:99], s[0:1]
	;; [unrolled: 1-line block ×3, first 2 shown]
	v_fma_f64 v[153:154], v[76:77], s[10:11], -v[161:162]
	v_add_f64 v[18:19], v[108:109], v[18:19]
	v_fma_f64 v[108:109], v[76:77], s[12:13], v[96:97]
	v_add_f64 v[42:43], v[42:43], v[78:79]
	v_fma_f64 v[139:140], v[72:73], s[4:5], v[120:121]
	v_add_f64 v[24:25], v[133:134], v[24:25]
	v_add_f64 v[16:17], v[26:27], v[16:17]
	v_fma_f64 v[143:144], v[72:73], s[12:13], -v[104:105]
	v_fma_f64 v[120:121], v[72:73], s[4:5], -v[120:121]
	v_add_f64 v[20:21], v[112:113], v[28:29]
	v_fma_f64 v[133:134], v[76:77], s[4:5], v[100:101]
	v_add_f64 v[22:23], v[137:138], v[36:37]
	v_fma_f64 v[26:27], v[76:77], s[4:5], -v[100:101]
	v_add_f64 v[28:29], v[86:87], v[116:117]
	v_fma_f64 v[36:37], v[72:73], s[12:13], v[104:105]
	v_add_f64 v[30:31], v[51:52], v[30:31]
	v_fma_f64 v[51:52], v[76:77], s[12:13], -v[96:97]
	v_add_f64 v[72:73], v[88:89], v[84:85]
	v_add_f64 v[78:79], v[14:15], v[10:11]
	;; [unrolled: 1-line block ×3, first 2 shown]
	v_fma_f64 v[53:54], v[70:71], s[12:13], v[34:35]
	v_fma_f64 v[34:35], v[70:71], s[12:13], -v[34:35]
	v_fma_f64 v[102:103], v[70:71], s[10:11], v[110:111]
	v_add_f64 v[80:81], v[80:81], -v[155:156]
	v_add_f64 v[92:93], v[92:93], v[18:19]
	v_fma_f64 v[96:97], v[70:71], s[4:5], -v[98:99]
	v_fma_f64 v[100:101], v[74:75], s[4:5], v[82:83]
	v_fma_f64 v[86:87], v[70:71], s[14:15], -v[106:107]
	v_add_f64 v[16:17], v[90:91], v[16:17]
	v_add_f64 v[24:25], v[143:144], v[24:25]
	;; [unrolled: 1-line block ×4, first 2 shown]
	v_fma_f64 v[88:89], v[74:75], s[14:15], v[145:146]
	v_add_f64 v[90:91], v[133:134], v[22:23]
	v_fma_f64 v[94:95], v[74:75], s[10:11], -v[141:142]
	v_fma_f64 v[110:111], v[70:71], s[10:11], -v[110:111]
	v_fma_f64 v[141:142], v[74:75], s[10:11], v[141:142]
	v_fma_f64 v[114:115], v[74:75], s[12:13], -v[127:128]
	v_fma_f64 v[127:128], v[74:75], s[12:13], v[127:128]
	v_add_f64 v[46:47], v[118:119], v[46:47]
	v_add_f64 v[118:119], v[153:154], v[151:152]
	v_fma_f64 v[76:77], v[70:71], s[14:15], v[106:107]
	v_add_f64 v[84:85], v[139:140], v[131:132]
	v_fma_f64 v[106:107], v[74:75], s[14:15], -v[145:146]
	v_add_f64 v[108:109], v[26:27], v[28:29]
	v_fma_f64 v[70:71], v[70:71], s[4:5], v[98:99]
	v_add_f64 v[98:99], v[36:37], v[30:31]
	v_fma_f64 v[74:75], v[74:75], s[4:5], -v[82:83]
	v_add_f64 v[51:52], v[51:52], v[72:73]
	v_add_f64 v[6:7], v[78:79], v[6:7]
	;; [unrolled: 1-line block ×19, first 2 shown]
	v_mad_u32_u24 v44, 0xa0, v58, v126
	v_add_f64 v[42:43], v[70:71], v[98:99]
	v_add_f64 v[40:41], v[74:75], v[51:52]
	ds_write_b128 v44, v[4:7]
	ds_write_b128 v44, v[32:35] offset:16
	ds_write_b128 v44, v[28:31] offset:32
	;; [unrolled: 1-line block ×10, first 2 shown]
.LBB0_19:
	s_or_b32 exec_lo, exec_lo, s30
	v_and_b32_e32 v4, 0xff, v58
	v_mov_b32_e32 v6, 0xba2f
	v_mov_b32_e32 v70, 4
	s_waitcnt lgkmcnt(0)
	s_barrier
	v_mul_lo_u16 v4, 0x75, v4
	v_mul_u32_u24_sdwa v7, v48, v6 dst_sel:DWORD dst_unused:UNUSED_PAD src0_sel:WORD_0 src1_sel:DWORD
	buffer_gl0_inv
	v_cmp_gt_u32_e64 s0, 0x42, v58
	v_lshrrev_b16 v4, 8, v4
	v_lshrrev_b32_e32 v91, 19, v7
	v_sub_nc_u16 v5, v58, v4
	v_lshrrev_b16 v5, 1, v5
	v_and_b32_e32 v5, 0x7f, v5
	v_add_nc_u16 v4, v5, v4
	v_mul_u32_u24_sdwa v5, v69, v6 dst_sel:DWORD dst_unused:UNUSED_PAD src0_sel:WORD_0 src1_sel:DWORD
	v_lshrrev_b16 v89, 3, v4
	v_mul_u32_u24_sdwa v4, v49, v6 dst_sel:DWORD dst_unused:UNUSED_PAD src0_sel:WORD_0 src1_sel:DWORD
	v_lshrrev_b32_e32 v90, 19, v5
	v_mul_u32_u24_sdwa v5, v50, v6 dst_sel:DWORD dst_unused:UNUSED_PAD src0_sel:WORD_0 src1_sel:DWORD
	v_mul_lo_u16 v6, v89, 11
	v_lshrrev_b32_e32 v92, 19, v4
	v_mul_lo_u16 v4, v90, 11
	v_lshrrev_b32_e32 v93, 19, v5
	v_mul_lo_u16 v5, v91, 11
	v_sub_nc_u16 v6, v58, v6
	v_mul_lo_u16 v7, v92, 11
	v_sub_nc_u16 v4, v69, v4
	;; [unrolled: 2-line block ×3, first 2 shown]
	v_lshlrev_b32_sdwa v94, v70, v6 dst_sel:DWORD dst_unused:UNUSED_PAD src0_sel:DWORD src1_sel:BYTE_0
	v_sub_nc_u16 v9, v49, v7
	v_lshlrev_b32_sdwa v95, v70, v4 dst_sel:DWORD dst_unused:UNUSED_PAD src0_sel:DWORD src1_sel:WORD_0
	v_sub_nc_u16 v12, v50, v8
	v_lshlrev_b32_sdwa v96, v70, v5 dst_sel:DWORD dst_unused:UNUSED_PAD src0_sel:DWORD src1_sel:WORD_0
	global_load_dwordx4 v[4:7], v94, s[8:9]
	v_lshlrev_b32_sdwa v97, v70, v9 dst_sel:DWORD dst_unused:UNUSED_PAD src0_sel:DWORD src1_sel:WORD_0
	global_load_dwordx4 v[8:11], v95, s[8:9]
	v_lshlrev_b32_sdwa v98, v70, v12 dst_sel:DWORD dst_unused:UNUSED_PAD src0_sel:DWORD src1_sel:WORD_0
	s_clause 0x2
	global_load_dwordx4 v[12:15], v96, s[8:9]
	global_load_dwordx4 v[16:19], v97, s[8:9]
	;; [unrolled: 1-line block ×3, first 2 shown]
	ds_read_b128 v[24:27], v126 offset:12320
	ds_read_b128 v[28:31], v126 offset:14784
	;; [unrolled: 1-line block ×6, first 2 shown]
	ds_read_b128 v[48:51], v126
	ds_read_b128 v[52:55], v126 offset:2464
	ds_read_b128 v[71:74], v126 offset:4928
	;; [unrolled: 1-line block ×3, first 2 shown]
	s_waitcnt vmcnt(0) lgkmcnt(0)
	s_barrier
	buffer_gl0_inv
	v_mul_f64 v[79:80], v[26:27], v[6:7]
	v_mul_f64 v[6:7], v[24:25], v[6:7]
	;; [unrolled: 1-line block ×10, first 2 shown]
	v_fma_f64 v[24:25], v[24:25], v[4:5], v[79:80]
	v_fma_f64 v[4:5], v[26:27], v[4:5], -v[6:7]
	v_fma_f64 v[6:7], v[28:29], v[8:9], v[81:82]
	v_fma_f64 v[8:9], v[30:31], v[8:9], -v[10:11]
	;; [unrolled: 2-line block ×5, first 2 shown]
	v_mov_b32_e32 v79, 0x160
	v_add_f64 v[16:17], v[48:49], -v[24:25]
	v_add_f64 v[18:19], v[50:51], -v[4:5]
	;; [unrolled: 1-line block ×10, first 2 shown]
	v_fma_f64 v[28:29], v[48:49], 2.0, -v[16:17]
	v_fma_f64 v[30:31], v[50:51], 2.0, -v[18:19]
	;; [unrolled: 1-line block ×10, first 2 shown]
	v_mul_u32_u24_sdwa v47, v89, v79 dst_sel:DWORD dst_unused:UNUSED_PAD src0_sel:WORD_0 src1_sel:DWORD
	v_mul_u32_u24_e32 v44, 0x160, v90
	v_mul_u32_u24_e32 v45, 0x160, v91
	;; [unrolled: 1-line block ×4, first 2 shown]
	v_add3_u32 v47, 0, v47, v94
	v_add3_u32 v44, 0, v44, v95
	;; [unrolled: 1-line block ×5, first 2 shown]
	ds_write_b128 v47, v[16:19] offset:176
	ds_write_b128 v47, v[28:31]
	ds_write_b128 v44, v[32:35]
	ds_write_b128 v44, v[20:23] offset:176
	ds_write_b128 v45, v[36:39]
	ds_write_b128 v45, v[24:27] offset:176
	;; [unrolled: 2-line block ×4, first 2 shown]
	s_waitcnt lgkmcnt(0)
	s_barrier
	buffer_gl0_inv
	ds_read_b128 v[28:31], v126
	ds_read_b128 v[48:51], v126 offset:3520
	ds_read_b128 v[44:47], v126 offset:7040
	;; [unrolled: 1-line block ×6, first 2 shown]
                                        ; implicit-def: $vgpr26_vgpr27
                                        ; implicit-def: $vgpr22_vgpr23
                                        ; implicit-def: $vgpr18_vgpr19
	s_and_saveexec_b32 s1, s0
	s_cbranch_execz .LBB0_21
; %bb.20:
	ds_read_b128 v[4:7], v126 offset:2464
	ds_read_b128 v[12:15], v126 offset:5984
	;; [unrolled: 1-line block ×7, first 2 shown]
.LBB0_21:
	s_or_b32 exec_lo, exec_lo, s1
	v_lshrrev_b16 v71, 1, v58
	s_mov_b32 s10, 0x37e14327
	s_mov_b32 s14, 0xe976ee23
	;; [unrolled: 1-line block ×4, first 2 shown]
	v_and_b32_e32 v71, 0x7f, v71
	s_mov_b32 s6, 0x429ad128
	s_mov_b32 s4, 0x36b3c0b5
	;; [unrolled: 1-line block ×4, first 2 shown]
	v_mul_lo_u16 v71, 0xbb, v71
	s_mov_b32 s12, 0xaaaaaaaa
	s_mov_b32 s22, 0xb247c609
	s_mov_b32 s13, 0xbff2aaaa
	s_mov_b32 s16, 0x5476071b
	v_lshrrev_b16 v108, 11, v71
	v_mov_b32_e32 v71, 6
	s_mov_b32 s23, 0xbfd5d0dc
	s_mov_b32 s17, 0x3fe77f67
	;; [unrolled: 1-line block ×3, first 2 shown]
	v_mul_lo_u16 v72, v108, 22
	s_mov_b32 s25, 0x3fd5d0dc
	s_mov_b32 s18, s16
	;; [unrolled: 1-line block ×4, first 2 shown]
	v_sub_nc_u16 v109, v58, v72
	s_mov_b32 s21, 0xbfdc38aa
	v_mul_u32_u24_sdwa v72, v109, v71 dst_sel:DWORD dst_unused:UNUSED_PAD src0_sel:BYTE_0 src1_sel:DWORD
	v_lshlrev_b32_e32 v92, 4, v72
	s_clause 0x5
	global_load_dwordx4 v[72:75], v92, s[8:9] offset:176
	global_load_dwordx4 v[76:79], v92, s[8:9] offset:192
	;; [unrolled: 1-line block ×6, first 2 shown]
	s_waitcnt vmcnt(0) lgkmcnt(0)
	s_barrier
	buffer_gl0_inv
	v_mul_f64 v[96:97], v[50:51], v[74:75]
	v_mul_f64 v[74:75], v[48:49], v[74:75]
	;; [unrolled: 1-line block ×12, first 2 shown]
	v_fma_f64 v[48:49], v[48:49], v[72:73], v[96:97]
	v_fma_f64 v[50:51], v[50:51], v[72:73], -v[74:75]
	v_fma_f64 v[44:45], v[44:45], v[76:77], v[98:99]
	v_fma_f64 v[46:47], v[46:47], v[76:77], -v[78:79]
	;; [unrolled: 2-line block ×6, first 2 shown]
	v_add_f64 v[72:73], v[48:49], v[52:53]
	v_add_f64 v[74:75], v[50:51], v[54:55]
	;; [unrolled: 1-line block ×4, first 2 shown]
	v_add_f64 v[40:41], v[44:45], -v[40:41]
	v_add_f64 v[42:43], v[46:47], -v[42:43]
	v_add_f64 v[44:45], v[36:37], v[32:33]
	v_add_f64 v[46:47], v[38:39], v[34:35]
	v_add_f64 v[32:33], v[32:33], -v[36:37]
	v_add_f64 v[34:35], v[34:35], -v[38:39]
	;; [unrolled: 1-line block ×4, first 2 shown]
	v_add_f64 v[48:49], v[76:77], v[72:73]
	v_add_f64 v[50:51], v[78:79], v[74:75]
	v_add_f64 v[52:53], v[72:73], -v[44:45]
	v_add_f64 v[54:55], v[74:75], -v[46:47]
	;; [unrolled: 1-line block ×6, first 2 shown]
	v_add_f64 v[40:41], v[32:33], v[40:41]
	v_add_f64 v[42:43], v[34:35], v[42:43]
	v_add_f64 v[88:89], v[36:37], -v[32:33]
	v_add_f64 v[90:91], v[38:39], -v[34:35]
	v_add_f64 v[48:49], v[44:45], v[48:49]
	v_add_f64 v[50:51], v[46:47], v[50:51]
	v_add_f64 v[44:45], v[44:45], -v[76:77]
	v_add_f64 v[46:47], v[46:47], -v[78:79]
	v_mul_f64 v[52:53], v[52:53], s[10:11]
	v_mul_f64 v[54:55], v[54:55], s[10:11]
	;; [unrolled: 1-line block ×6, first 2 shown]
	v_add_f64 v[36:37], v[40:41], v[36:37]
	v_add_f64 v[38:39], v[42:43], v[38:39]
	;; [unrolled: 1-line block ×4, first 2 shown]
	v_add_f64 v[28:29], v[76:77], -v[72:73]
	v_add_f64 v[30:31], v[78:79], -v[74:75]
	v_mul_f64 v[72:73], v[44:45], s[4:5]
	v_mul_f64 v[74:75], v[46:47], s[4:5]
	v_fma_f64 v[40:41], v[44:45], s[4:5], v[52:53]
	v_fma_f64 v[42:43], v[46:47], s[4:5], v[54:55]
	;; [unrolled: 1-line block ×4, first 2 shown]
	v_fma_f64 v[76:77], v[84:85], s[6:7], -v[80:81]
	v_fma_f64 v[78:79], v[86:87], s[6:7], -v[82:83]
	;; [unrolled: 1-line block ×4, first 2 shown]
	v_fma_f64 v[48:49], v[48:49], s[12:13], v[32:33]
	v_fma_f64 v[50:51], v[50:51], s[12:13], v[34:35]
	v_fma_f64 v[52:53], v[28:29], s[18:19], -v[52:53]
	v_fma_f64 v[54:55], v[30:31], s[18:19], -v[54:55]
	;; [unrolled: 1-line block ×4, first 2 shown]
	v_fma_f64 v[74:75], v[36:37], s[20:21], v[44:45]
	v_fma_f64 v[72:73], v[38:39], s[20:21], v[46:47]
	;; [unrolled: 1-line block ×6, first 2 shown]
	v_add_f64 v[84:85], v[40:41], v[48:49]
	v_add_f64 v[86:87], v[42:43], v[50:51]
	;; [unrolled: 1-line block ×7, first 2 shown]
	v_add_f64 v[38:39], v[86:87], -v[74:75]
	v_add_f64 v[40:41], v[82:83], v[52:53]
	v_add_f64 v[42:43], v[54:55], -v[80:81]
	v_add_f64 v[44:45], v[28:29], -v[78:79]
	v_add_f64 v[46:47], v[76:77], v[30:31]
	v_add_f64 v[48:49], v[78:79], v[28:29]
	v_add_f64 v[50:51], v[30:31], -v[76:77]
	v_add_f64 v[52:53], v[52:53], -v[82:83]
	v_add_f64 v[54:55], v[80:81], v[54:55]
	v_add_f64 v[72:73], v[84:85], -v[72:73]
	v_add_f64 v[74:75], v[74:75], v[86:87]
	v_mov_b32_e32 v28, 0x9a0
	v_lshlrev_b32_sdwa v30, v70, v109 dst_sel:DWORD dst_unused:UNUSED_PAD src0_sel:DWORD src1_sel:BYTE_0
	v_mul_u32_u24_sdwa v29, v108, v28 dst_sel:DWORD dst_unused:UNUSED_PAD src0_sel:WORD_0 src1_sel:DWORD
	v_add3_u32 v29, 0, v29, v30
	ds_write_b128 v29, v[32:35]
	ds_write_b128 v29, v[36:39] offset:352
	ds_write_b128 v29, v[40:43] offset:704
	;; [unrolled: 1-line block ×6, first 2 shown]
	s_and_saveexec_b32 s1, s0
	s_cbranch_execz .LBB0_23
; %bb.22:
	v_mov_b32_e32 v29, 0xba2f
	v_mul_u32_u24_sdwa v29, v69, v29 dst_sel:DWORD dst_unused:UNUSED_PAD src0_sel:WORD_0 src1_sel:DWORD
	v_lshrrev_b32_e32 v29, 20, v29
	v_mul_lo_u16 v29, v29, 22
	v_sub_nc_u16 v55, v69, v29
	v_mul_u32_u24_sdwa v29, v55, v71 dst_sel:DWORD dst_unused:UNUSED_PAD src0_sel:WORD_0 src1_sel:DWORD
	v_lshlrev_b32_e32 v49, 4, v29
	s_clause 0x5
	global_load_dwordx4 v[29:32], v49, s[8:9] offset:192
	global_load_dwordx4 v[33:36], v49, s[8:9] offset:240
	;; [unrolled: 1-line block ×6, first 2 shown]
	s_waitcnt vmcnt(5)
	v_mul_f64 v[53:54], v[8:9], v[31:32]
	s_waitcnt vmcnt(4)
	v_mul_f64 v[70:71], v[20:21], v[35:36]
	;; [unrolled: 2-line block ×4, first 2 shown]
	v_mul_f64 v[31:32], v[10:11], v[31:32]
	v_mul_f64 v[35:36], v[22:23], v[35:36]
	;; [unrolled: 1-line block ×4, first 2 shown]
	s_waitcnt vmcnt(1)
	v_mul_f64 v[76:77], v[18:19], v[47:48]
	s_waitcnt vmcnt(0)
	v_mul_f64 v[78:79], v[2:3], v[51:52]
	v_mul_f64 v[51:52], v[0:1], v[51:52]
	v_mul_f64 v[47:48], v[16:17], v[47:48]
	v_fma_f64 v[10:11], v[10:11], v[29:30], -v[53:54]
	v_fma_f64 v[22:23], v[22:23], v[33:34], -v[70:71]
	;; [unrolled: 1-line block ×4, first 2 shown]
	v_fma_f64 v[8:9], v[8:9], v[29:30], v[31:32]
	v_fma_f64 v[20:21], v[20:21], v[33:34], v[35:36]
	;; [unrolled: 1-line block ×6, first 2 shown]
	v_fma_f64 v[2:3], v[2:3], v[49:50], -v[51:52]
	v_fma_f64 v[18:19], v[18:19], v[45:46], -v[47:48]
	v_add_f64 v[29:30], v[10:11], v[22:23]
	v_add_f64 v[10:11], v[10:11], -v[22:23]
	v_add_f64 v[31:32], v[14:15], v[26:27]
	v_add_f64 v[14:15], v[14:15], -v[26:27]
	;; [unrolled: 2-line block ×4, first 2 shown]
	v_add_f64 v[37:38], v[16:17], -v[0:1]
	v_add_f64 v[0:1], v[0:1], v[16:17]
	v_add_f64 v[20:21], v[2:3], v[18:19]
	v_add_f64 v[2:3], v[18:19], -v[2:3]
	v_add_f64 v[16:17], v[29:30], v[31:32]
	v_add_f64 v[43:44], v[10:11], -v[14:15]
	v_add_f64 v[18:19], v[33:34], v[35:36]
	v_add_f64 v[39:40], v[8:9], -v[12:13]
	v_add_f64 v[22:23], v[37:38], -v[8:9]
	v_add_f64 v[26:27], v[35:36], -v[0:1]
	;; [unrolled: 1-line block ×5, first 2 shown]
	v_add_f64 v[8:9], v[37:38], v[8:9]
	v_add_f64 v[37:38], v[12:13], -v[37:38]
	v_add_f64 v[10:11], v[2:3], v[10:11]
	v_add_f64 v[49:50], v[14:15], -v[2:3]
	;; [unrolled: 2-line block ×3, first 2 shown]
	v_add_f64 v[18:19], v[0:1], v[18:19]
	v_mul_f64 v[47:48], v[39:40], s[6:7]
	v_mul_f64 v[22:23], v[22:23], s[14:15]
	;; [unrolled: 1-line block ×4, first 2 shown]
	v_add_f64 v[8:9], v[8:9], v[12:13]
	v_add_f64 v[10:11], v[10:11], v[14:15]
	;; [unrolled: 1-line block ×3, first 2 shown]
	v_add_f64 v[6:7], v[29:30], -v[31:32]
	v_mul_f64 v[29:30], v[20:21], s[4:5]
	v_mul_f64 v[31:32], v[41:42], s[14:15]
	v_add_f64 v[0:1], v[4:5], v[18:19]
	v_mul_f64 v[41:42], v[43:44], s[6:7]
	v_add_f64 v[4:5], v[33:34], -v[35:36]
	v_mul_f64 v[33:34], v[45:46], s[4:5]
	v_fma_f64 v[12:13], v[37:38], s[22:23], v[22:23]
	v_fma_f64 v[14:15], v[20:21], s[4:5], v[24:25]
	;; [unrolled: 1-line block ×3, first 2 shown]
	v_fma_f64 v[35:36], v[37:38], s[24:25], -v[47:48]
	v_fma_f64 v[22:23], v[39:40], s[6:7], -v[22:23]
	v_fma_f64 v[16:17], v[16:17], s[12:13], v[2:3]
	v_fma_f64 v[24:25], v[6:7], s[18:19], -v[24:25]
	v_fma_f64 v[6:7], v[6:7], s[16:17], -v[29:30]
	v_fma_f64 v[29:30], v[49:50], s[22:23], v[31:32]
	v_fma_f64 v[18:19], v[18:19], s[12:13], v[0:1]
	v_fma_f64 v[37:38], v[49:50], s[24:25], -v[41:42]
	v_fma_f64 v[26:27], v[4:5], s[18:19], -v[26:27]
	;; [unrolled: 1-line block ×4, first 2 shown]
	v_fma_f64 v[12:13], v[8:9], s[20:21], v[12:13]
	v_lshrrev_b16 v43, 1, v69
	v_fma_f64 v[33:34], v[8:9], s[20:21], v[35:36]
	v_fma_f64 v[8:9], v[8:9], s[20:21], v[22:23]
	v_add_f64 v[35:36], v[14:15], v[16:17]
	v_add_f64 v[22:23], v[24:25], v[16:17]
	;; [unrolled: 1-line block ×3, first 2 shown]
	v_fma_f64 v[29:30], v[10:11], s[20:21], v[29:30]
	v_add_f64 v[39:40], v[20:21], v[18:19]
	v_fma_f64 v[37:38], v[10:11], s[20:21], v[37:38]
	v_add_f64 v[41:42], v[26:27], v[18:19]
	v_fma_f64 v[31:32], v[10:11], s[20:21], v[31:32]
	v_add_f64 v[4:5], v[4:5], v[18:19]
	v_and_b32_e32 v6, 0x7f, v43
	v_mul_lo_u16 v6, 0xbb, v6
	v_lshrrev_b16 v43, 11, v6
	v_add_f64 v[26:27], v[35:36], -v[12:13]
	v_add_f64 v[10:11], v[33:34], v[22:23]
	v_add_f64 v[22:23], v[22:23], -v[33:34]
	v_add_f64 v[14:15], v[16:17], -v[8:9]
	v_add_f64 v[24:25], v[29:30], v[39:40]
	v_add_f64 v[18:19], v[8:9], v[16:17]
	;; [unrolled: 1-line block ×4, first 2 shown]
	v_add_f64 v[16:17], v[4:5], -v[31:32]
	v_add_f64 v[12:13], v[31:32], v[4:5]
	v_add_f64 v[8:9], v[41:42], -v[37:38]
	v_add_f64 v[4:5], v[39:40], -v[29:30]
	v_mov_b32_e32 v29, 4
	v_mul_u32_u24_sdwa v28, v43, v28 dst_sel:DWORD dst_unused:UNUSED_PAD src0_sel:WORD_0 src1_sel:DWORD
	v_lshlrev_b32_sdwa v29, v29, v55 dst_sel:DWORD dst_unused:UNUSED_PAD src0_sel:DWORD src1_sel:WORD_0
	v_add3_u32 v28, 0, v28, v29
	ds_write_b128 v28, v[0:3]
	ds_write_b128 v28, v[24:27] offset:352
	ds_write_b128 v28, v[20:23] offset:704
	;; [unrolled: 1-line block ×6, first 2 shown]
.LBB0_23:
	s_or_b32 exec_lo, exec_lo, s1
	v_lshlrev_b32_e32 v7, 2, v58
	v_mov_b32_e32 v8, 0
	s_waitcnt lgkmcnt(0)
	s_barrier
	buffer_gl0_inv
	s_mov_b32 s10, 0x134454ff
	v_lshlrev_b64 v[0:1], 4, v[7:8]
	s_mov_b32 s11, 0xbfee6f0e
	s_mov_b32 s13, 0x3fee6f0e
	;; [unrolled: 1-line block ×5, first 2 shown]
	v_add_co_u32 v2, s0, s8, v0
	v_add_co_ci_u32_e64 v3, s0, s9, v1, s0
	s_mov_b32 s1, 0x3fe2cf23
	v_add_co_u32 v0, s0, 0x800, v2
	v_add_co_ci_u32_e64 v1, s0, 0, v3, s0
	v_add_co_u32 v2, s0, 0x8f0, v2
	v_add_co_ci_u32_e64 v3, s0, 0, v3, s0
	s_clause 0x3
	global_load_dwordx4 v[9:12], v[0:1], off offset:240
	global_load_dwordx4 v[13:16], v[2:3], off offset:16
	;; [unrolled: 1-line block ×4, first 2 shown]
	ds_read_b128 v[4:7], v126
	ds_read_b128 v[0:3], v126 offset:2464
	ds_read_b128 v[25:28], v126 offset:4928
	;; [unrolled: 1-line block ×9, first 2 shown]
	v_add_co_u32 v55, s0, s8, v59
	v_add_co_ci_u32_e64 v105, s0, s9, v60, s0
	v_add_co_u32 v106, s0, s8, v61
	v_add_co_ci_u32_e64 v107, s0, s9, v62, s0
	;; [unrolled: 2-line block ×5, first 2 shown]
	s_mov_b32 s0, s6
	s_mov_b32 s4, 0x372fe950
	;; [unrolled: 1-line block ×3, first 2 shown]
	s_waitcnt vmcnt(0) lgkmcnt(0)
	s_barrier
	buffer_gl0_inv
	v_mul_f64 v[53:54], v[27:28], v[11:12]
	v_mul_f64 v[73:74], v[35:36], v[15:16]
	;; [unrolled: 1-line block ×16, first 2 shown]
	v_fma_f64 v[25:26], v[25:26], v[9:10], v[53:54]
	v_fma_f64 v[33:34], v[33:34], v[13:14], v[73:74]
	v_fma_f64 v[35:36], v[35:36], v[13:14], -v[75:76]
	v_fma_f64 v[41:42], v[41:42], v[17:18], v[77:78]
	v_fma_f64 v[43:44], v[43:44], v[17:18], -v[79:80]
	;; [unrolled: 2-line block ×3, first 2 shown]
	v_fma_f64 v[51:52], v[51:52], v[21:22], -v[83:84]
	v_fma_f64 v[29:30], v[29:30], v[9:10], v[61:62]
	v_fma_f64 v[9:10], v[31:32], v[9:10], -v[11:12]
	v_fma_f64 v[11:12], v[37:38], v[13:14], v[63:64]
	;; [unrolled: 2-line block ×4, first 2 shown]
	v_fma_f64 v[21:22], v[71:72], v[21:22], -v[23:24]
	v_add_f64 v[23:24], v[4:5], v[25:26]
	v_add_f64 v[45:46], v[25:26], -v[33:34]
	v_add_f64 v[59:60], v[33:34], -v[25:26]
	v_add_f64 v[31:32], v[33:34], v[41:42]
	v_add_f64 v[65:66], v[35:36], v[43:44]
	;; [unrolled: 1-line block ×3, first 2 shown]
	v_add_f64 v[47:48], v[49:50], -v[41:42]
	v_add_f64 v[73:74], v[27:28], v[51:52]
	v_add_f64 v[63:64], v[6:7], v[27:28]
	;; [unrolled: 1-line block ×4, first 2 shown]
	v_add_f64 v[37:38], v[27:28], -v[51:52]
	v_add_f64 v[77:78], v[11:12], v[15:16]
	v_add_f64 v[85:86], v[13:14], v[17:18]
	;; [unrolled: 1-line block ×4, first 2 shown]
	v_add_f64 v[39:40], v[35:36], -v[43:44]
	v_add_f64 v[61:62], v[41:42], -v[49:50]
	v_add_f64 v[25:26], v[25:26], -v[49:50]
	v_add_f64 v[69:70], v[27:28], -v[35:36]
	v_add_f64 v[71:72], v[51:52], -v[43:44]
	v_add_f64 v[27:28], v[35:36], -v[27:28]
	v_add_f64 v[75:76], v[43:44], -v[51:52]
	v_add_f64 v[67:68], v[33:34], -v[41:42]
	v_add_f64 v[83:84], v[9:10], -v[21:22]
	v_fma_f64 v[31:32], v[31:32], -0.5, v[4:5]
	v_fma_f64 v[65:66], v[65:66], -0.5, v[6:7]
	;; [unrolled: 1-line block ×3, first 2 shown]
	v_add_f64 v[91:92], v[29:30], -v[11:12]
	v_fma_f64 v[6:7], v[73:74], -0.5, v[6:7]
	v_add_f64 v[95:96], v[11:12], -v[29:30]
	v_add_f64 v[29:30], v[29:30], -v[19:20]
	v_add_f64 v[23:24], v[23:24], v[33:34]
	v_add_f64 v[33:34], v[45:46], v[47:48]
	v_fma_f64 v[77:78], v[77:78], -0.5, v[0:1]
	v_fma_f64 v[45:46], v[85:86], -0.5, v[2:3]
	v_add_f64 v[87:88], v[13:14], -v[17:18]
	v_add_f64 v[93:94], v[19:20], -v[15:16]
	;; [unrolled: 1-line block ×3, first 2 shown]
	v_fma_f64 v[0:1], v[81:82], -0.5, v[0:1]
	v_fma_f64 v[2:3], v[89:90], -0.5, v[2:3]
	v_add_f64 v[103:104], v[9:10], -v[13:14]
	v_add_f64 v[9:10], v[13:14], -v[9:10]
	;; [unrolled: 1-line block ×3, first 2 shown]
	v_add_f64 v[35:36], v[63:64], v[35:36]
	v_add_f64 v[11:12], v[79:80], v[11:12]
	;; [unrolled: 1-line block ×6, first 2 shown]
	v_fma_f64 v[69:70], v[37:38], s[10:11], v[31:32]
	v_fma_f64 v[31:32], v[37:38], s[12:13], v[31:32]
	;; [unrolled: 1-line block ×8, first 2 shown]
	v_add_f64 v[53:54], v[21:22], -v[17:18]
	v_fma_f64 v[81:82], v[83:84], s[10:11], v[77:78]
	v_fma_f64 v[89:90], v[29:30], s[12:13], v[45:46]
	v_add_f64 v[97:98], v[15:16], -v[19:20]
	v_add_f64 v[61:62], v[91:92], v[93:94]
	v_fma_f64 v[85:86], v[87:88], s[12:13], v[0:1]
	v_fma_f64 v[91:92], v[101:102], s[10:11], v[2:3]
	;; [unrolled: 1-line block ×6, first 2 shown]
	v_add_f64 v[73:74], v[9:10], v[73:74]
	v_add_f64 v[9:10], v[23:24], v[41:42]
	;; [unrolled: 1-line block ×5, first 2 shown]
	v_fma_f64 v[15:16], v[39:40], s[6:7], v[69:70]
	v_fma_f64 v[17:18], v[39:40], s[0:1], v[31:32]
	;; [unrolled: 1-line block ×8, first 2 shown]
	v_add_f64 v[53:54], v[103:104], v[53:54]
	v_fma_f64 v[43:44], v[87:88], s[6:7], v[81:82]
	v_fma_f64 v[71:72], v[101:102], s[0:1], v[89:90]
	v_add_f64 v[63:64], v[95:96], v[97:98]
	v_fma_f64 v[67:68], v[83:84], s[6:7], v[85:86]
	v_fma_f64 v[75:76], v[29:30], s[0:1], v[91:92]
	;; [unrolled: 1-line block ×6, first 2 shown]
	v_add_f64 v[0:1], v[9:10], v[49:50]
	v_add_f64 v[2:3], v[23:24], v[51:52]
	v_add_f64 v[4:5], v[11:12], v[19:20]
	v_add_f64 v[6:7], v[13:14], v[21:22]
	v_fma_f64 v[9:10], v[33:34], s[4:5], v[15:16]
	v_fma_f64 v[13:14], v[33:34], s[4:5], v[17:18]
	;; [unrolled: 1-line block ×8, first 2 shown]
	v_add_co_u32 v79, s0, 0x2800, v55
	v_fma_f64 v[25:26], v[61:62], s[4:5], v[43:44]
	v_fma_f64 v[27:28], v[53:54], s[4:5], v[71:72]
	v_fma_f64 v[33:34], v[63:64], s[4:5], v[67:68]
	v_fma_f64 v[35:36], v[73:74], s[4:5], v[75:76]
	v_fma_f64 v[29:30], v[61:62], s[4:5], v[65:66]
	v_fma_f64 v[37:38], v[63:64], s[4:5], v[69:70]
	v_fma_f64 v[39:40], v[73:74], s[4:5], v[77:78]
	v_fma_f64 v[31:32], v[53:54], s[4:5], v[45:46]
	v_add_co_ci_u32_e64 v80, s0, 0, v105, s0
	v_add_co_u32 v41, s0, 0x2800, v106
	v_add_co_ci_u32_e64 v42, s0, 0, v107, s0
	v_add_co_u32 v43, s0, 0x2800, v108
	;; [unrolled: 2-line block ×3, first 2 shown]
	v_add_co_ci_u32_e64 v46, s0, 0, v111, s0
	ds_write_b128 v126, v[0:3]
	ds_write_b128 v126, v[4:7] offset:12320
	ds_write_b128 v126, v[9:12] offset:2464
	;; [unrolled: 1-line block ×9, first 2 shown]
	v_add_co_u32 v17, s0, 0x2800, v112
	s_waitcnt lgkmcnt(0)
	s_barrier
	buffer_gl0_inv
	s_clause 0x1
	global_load_dwordx4 v[0:3], v[79:80], off offset:1904
	global_load_dwordx4 v[4:7], v[41:42], off offset:1904
	v_add_co_ci_u32_e64 v18, s0, 0, v113, s0
	s_clause 0x2
	global_load_dwordx4 v[9:12], v[43:44], off offset:1904
	global_load_dwordx4 v[13:16], v[45:46], off offset:1904
	;; [unrolled: 1-line block ×3, first 2 shown]
	ds_read_b128 v[21:24], v126 offset:12320
	ds_read_b128 v[25:28], v126 offset:14784
	;; [unrolled: 1-line block ×6, first 2 shown]
	ds_read_b128 v[45:48], v126
	ds_read_b128 v[49:52], v126 offset:2464
	ds_read_b128 v[59:62], v126 offset:4928
	;; [unrolled: 1-line block ×3, first 2 shown]
	s_waitcnt vmcnt(0) lgkmcnt(0)
	s_barrier
	buffer_gl0_inv
	v_mul_f64 v[53:54], v[23:24], v[2:3]
	v_mul_f64 v[2:3], v[21:22], v[2:3]
	;; [unrolled: 1-line block ×10, first 2 shown]
	v_fma_f64 v[21:22], v[21:22], v[0:1], v[53:54]
	v_fma_f64 v[2:3], v[23:24], v[0:1], -v[2:3]
	v_fma_f64 v[23:24], v[25:26], v[4:5], v[67:68]
	v_fma_f64 v[6:7], v[27:28], v[4:5], -v[6:7]
	;; [unrolled: 2-line block ×5, first 2 shown]
	v_add_f64 v[0:1], v[45:46], -v[21:22]
	v_add_f64 v[2:3], v[47:48], -v[2:3]
	;; [unrolled: 1-line block ×10, first 2 shown]
	v_fma_f64 v[21:22], v[45:46], 2.0, -v[0:1]
	v_fma_f64 v[23:24], v[47:48], 2.0, -v[2:3]
	;; [unrolled: 1-line block ×10, first 2 shown]
	ds_write_b128 v126, v[0:3] offset:12320
	ds_write_b128 v126, v[4:7] offset:14784
	;; [unrolled: 1-line block ×5, first 2 shown]
	ds_write_b128 v126, v[21:24]
	ds_write_b128 v126, v[25:28] offset:2464
	ds_write_b128 v126, v[29:32] offset:4928
	ds_write_b128 v126, v[33:36] offset:7392
	ds_write_b128 v126, v[37:40] offset:9856
	s_waitcnt lgkmcnt(0)
	s_barrier
	buffer_gl0_inv
	s_and_saveexec_b32 s0, vcc_lo
	s_cbranch_execz .LBB0_25
; %bb.24:
	v_lshl_add_u32 v6, v58, 4, 0
	v_mov_b32_e32 v59, v8
	v_add_nc_u32_e32 v7, 0x9a, v58
	v_add_co_u32 v31, vcc_lo, s2, v56
	ds_read_b128 v[0:3], v6
	ds_read_b128 v[9:12], v6 offset:2464
	v_lshlrev_b64 v[4:5], 4, v[58:59]
	v_lshlrev_b64 v[13:14], 4, v[7:8]
	v_add_co_ci_u32_e32 v32, vcc_lo, s3, v57, vcc_lo
	v_add_nc_u32_e32 v7, 0x134, v58
	v_add_co_u32 v4, vcc_lo, v31, v4
	v_add_co_ci_u32_e32 v5, vcc_lo, v32, v5, vcc_lo
	v_add_co_u32 v23, vcc_lo, v31, v13
	v_add_co_ci_u32_e32 v24, vcc_lo, v32, v14, vcc_lo
	v_lshlrev_b64 v[21:22], 4, v[7:8]
	v_add_nc_u32_e32 v7, 0x1ce, v58
	ds_read_b128 v[13:16], v6 offset:4928
	ds_read_b128 v[17:20], v6 offset:7392
	s_waitcnt lgkmcnt(3)
	global_store_dwordx4 v[4:5], v[0:3], off
	s_waitcnt lgkmcnt(2)
	global_store_dwordx4 v[23:24], v[9:12], off
	ds_read_b128 v[0:3], v6 offset:9856
	v_lshlrev_b64 v[4:5], 4, v[7:8]
	v_add_nc_u32_e32 v7, 0x268, v58
	v_add_co_u32 v9, vcc_lo, v31, v21
	v_add_co_ci_u32_e32 v10, vcc_lo, v32, v22, vcc_lo
	v_lshlrev_b64 v[11:12], 4, v[7:8]
	v_add_co_u32 v4, vcc_lo, v31, v4
	v_add_nc_u32_e32 v7, 0x302, v58
	v_add_co_ci_u32_e32 v5, vcc_lo, v32, v5, vcc_lo
	v_add_co_u32 v21, vcc_lo, v31, v11
	v_add_co_ci_u32_e32 v22, vcc_lo, v32, v12, vcc_lo
	v_lshlrev_b64 v[23:24], 4, v[7:8]
	v_add_nc_u32_e32 v7, 0x39c, v58
	s_waitcnt lgkmcnt(2)
	global_store_dwordx4 v[9:10], v[13:16], off
	s_waitcnt lgkmcnt(1)
	global_store_dwordx4 v[4:5], v[17:20], off
	;; [unrolled: 2-line block ×3, first 2 shown]
	ds_read_b128 v[9:12], v6 offset:12320
	v_lshlrev_b64 v[0:1], 4, v[7:8]
	v_add_co_u32 v4, vcc_lo, v31, v23
	v_add_nc_u32_e32 v7, 0x436, v58
	v_add_co_ci_u32_e32 v5, vcc_lo, v32, v24, vcc_lo
	v_add_co_u32 v25, vcc_lo, v31, v0
	v_add_co_ci_u32_e32 v26, vcc_lo, v32, v1, vcc_lo
	ds_read_b128 v[0:3], v6 offset:14784
	ds_read_b128 v[13:16], v6 offset:17248
	;; [unrolled: 1-line block ×4, first 2 shown]
	v_lshlrev_b64 v[27:28], 4, v[7:8]
	v_add_nc_u32_e32 v7, 0x4d0, v58
	v_lshlrev_b64 v[29:30], 4, v[7:8]
	v_add_nc_u32_e32 v7, 0x56a, v58
	v_add_co_u32 v27, vcc_lo, v31, v27
	v_add_co_ci_u32_e32 v28, vcc_lo, v32, v28, vcc_lo
	v_lshlrev_b64 v[6:7], 4, v[7:8]
	v_add_co_u32 v29, vcc_lo, v31, v29
	v_add_co_ci_u32_e32 v30, vcc_lo, v32, v30, vcc_lo
	v_add_co_u32 v6, vcc_lo, v31, v6
	v_add_co_ci_u32_e32 v7, vcc_lo, v32, v7, vcc_lo
	s_waitcnt lgkmcnt(4)
	global_store_dwordx4 v[4:5], v[9:12], off
	s_waitcnt lgkmcnt(3)
	global_store_dwordx4 v[25:26], v[0:3], off
	;; [unrolled: 2-line block ×5, first 2 shown]
.LBB0_25:
	s_endpgm
	.section	.rodata,"a",@progbits
	.p2align	6, 0x0
	.amdhsa_kernel fft_rtc_back_len1540_factors_11_2_7_5_2_wgs_154_tpt_154_halfLds_dp_ip_CI_unitstride_sbrr_C2R_dirReg
		.amdhsa_group_segment_fixed_size 0
		.amdhsa_private_segment_fixed_size 0
		.amdhsa_kernarg_size 88
		.amdhsa_user_sgpr_count 6
		.amdhsa_user_sgpr_private_segment_buffer 1
		.amdhsa_user_sgpr_dispatch_ptr 0
		.amdhsa_user_sgpr_queue_ptr 0
		.amdhsa_user_sgpr_kernarg_segment_ptr 1
		.amdhsa_user_sgpr_dispatch_id 0
		.amdhsa_user_sgpr_flat_scratch_init 0
		.amdhsa_user_sgpr_private_segment_size 0
		.amdhsa_wavefront_size32 1
		.amdhsa_uses_dynamic_stack 0
		.amdhsa_system_sgpr_private_segment_wavefront_offset 0
		.amdhsa_system_sgpr_workgroup_id_x 1
		.amdhsa_system_sgpr_workgroup_id_y 0
		.amdhsa_system_sgpr_workgroup_id_z 0
		.amdhsa_system_sgpr_workgroup_info 0
		.amdhsa_system_vgpr_workitem_id 0
		.amdhsa_next_free_vgpr 171
		.amdhsa_next_free_sgpr 31
		.amdhsa_reserve_vcc 1
		.amdhsa_reserve_flat_scratch 0
		.amdhsa_float_round_mode_32 0
		.amdhsa_float_round_mode_16_64 0
		.amdhsa_float_denorm_mode_32 3
		.amdhsa_float_denorm_mode_16_64 3
		.amdhsa_dx10_clamp 1
		.amdhsa_ieee_mode 1
		.amdhsa_fp16_overflow 0
		.amdhsa_workgroup_processor_mode 1
		.amdhsa_memory_ordered 1
		.amdhsa_forward_progress 0
		.amdhsa_shared_vgpr_count 0
		.amdhsa_exception_fp_ieee_invalid_op 0
		.amdhsa_exception_fp_denorm_src 0
		.amdhsa_exception_fp_ieee_div_zero 0
		.amdhsa_exception_fp_ieee_overflow 0
		.amdhsa_exception_fp_ieee_underflow 0
		.amdhsa_exception_fp_ieee_inexact 0
		.amdhsa_exception_int_div_zero 0
	.end_amdhsa_kernel
	.text
.Lfunc_end0:
	.size	fft_rtc_back_len1540_factors_11_2_7_5_2_wgs_154_tpt_154_halfLds_dp_ip_CI_unitstride_sbrr_C2R_dirReg, .Lfunc_end0-fft_rtc_back_len1540_factors_11_2_7_5_2_wgs_154_tpt_154_halfLds_dp_ip_CI_unitstride_sbrr_C2R_dirReg
                                        ; -- End function
	.section	.AMDGPU.csdata,"",@progbits
; Kernel info:
; codeLenInByte = 11716
; NumSgprs: 33
; NumVgprs: 171
; ScratchSize: 0
; MemoryBound: 0
; FloatMode: 240
; IeeeMode: 1
; LDSByteSize: 0 bytes/workgroup (compile time only)
; SGPRBlocks: 4
; VGPRBlocks: 21
; NumSGPRsForWavesPerEU: 33
; NumVGPRsForWavesPerEU: 171
; Occupancy: 5
; WaveLimiterHint : 1
; COMPUTE_PGM_RSRC2:SCRATCH_EN: 0
; COMPUTE_PGM_RSRC2:USER_SGPR: 6
; COMPUTE_PGM_RSRC2:TRAP_HANDLER: 0
; COMPUTE_PGM_RSRC2:TGID_X_EN: 1
; COMPUTE_PGM_RSRC2:TGID_Y_EN: 0
; COMPUTE_PGM_RSRC2:TGID_Z_EN: 0
; COMPUTE_PGM_RSRC2:TIDIG_COMP_CNT: 0
	.text
	.p2alignl 6, 3214868480
	.fill 48, 4, 3214868480
	.type	__hip_cuid_75f85dfd0810fed8,@object ; @__hip_cuid_75f85dfd0810fed8
	.section	.bss,"aw",@nobits
	.globl	__hip_cuid_75f85dfd0810fed8
__hip_cuid_75f85dfd0810fed8:
	.byte	0                               ; 0x0
	.size	__hip_cuid_75f85dfd0810fed8, 1

	.ident	"AMD clang version 19.0.0git (https://github.com/RadeonOpenCompute/llvm-project roc-6.4.0 25133 c7fe45cf4b819c5991fe208aaa96edf142730f1d)"
	.section	".note.GNU-stack","",@progbits
	.addrsig
	.addrsig_sym __hip_cuid_75f85dfd0810fed8
	.amdgpu_metadata
---
amdhsa.kernels:
  - .args:
      - .actual_access:  read_only
        .address_space:  global
        .offset:         0
        .size:           8
        .value_kind:     global_buffer
      - .offset:         8
        .size:           8
        .value_kind:     by_value
      - .actual_access:  read_only
        .address_space:  global
        .offset:         16
        .size:           8
        .value_kind:     global_buffer
      - .actual_access:  read_only
        .address_space:  global
        .offset:         24
        .size:           8
        .value_kind:     global_buffer
      - .offset:         32
        .size:           8
        .value_kind:     by_value
      - .actual_access:  read_only
        .address_space:  global
        .offset:         40
        .size:           8
        .value_kind:     global_buffer
      - .actual_access:  read_only
        .address_space:  global
        .offset:         48
        .size:           8
        .value_kind:     global_buffer
      - .offset:         56
        .size:           4
        .value_kind:     by_value
      - .actual_access:  read_only
        .address_space:  global
        .offset:         64
        .size:           8
        .value_kind:     global_buffer
      - .actual_access:  read_only
        .address_space:  global
        .offset:         72
        .size:           8
        .value_kind:     global_buffer
      - .address_space:  global
        .offset:         80
        .size:           8
        .value_kind:     global_buffer
    .group_segment_fixed_size: 0
    .kernarg_segment_align: 8
    .kernarg_segment_size: 88
    .language:       OpenCL C
    .language_version:
      - 2
      - 0
    .max_flat_workgroup_size: 154
    .name:           fft_rtc_back_len1540_factors_11_2_7_5_2_wgs_154_tpt_154_halfLds_dp_ip_CI_unitstride_sbrr_C2R_dirReg
    .private_segment_fixed_size: 0
    .sgpr_count:     33
    .sgpr_spill_count: 0
    .symbol:         fft_rtc_back_len1540_factors_11_2_7_5_2_wgs_154_tpt_154_halfLds_dp_ip_CI_unitstride_sbrr_C2R_dirReg.kd
    .uniform_work_group_size: 1
    .uses_dynamic_stack: false
    .vgpr_count:     171
    .vgpr_spill_count: 0
    .wavefront_size: 32
    .workgroup_processor_mode: 1
amdhsa.target:   amdgcn-amd-amdhsa--gfx1030
amdhsa.version:
  - 1
  - 2
...

	.end_amdgpu_metadata
